;; amdgpu-corpus repo=ROCm/rocFFT kind=compiled arch=gfx1030 opt=O3
	.text
	.amdgcn_target "amdgcn-amd-amdhsa--gfx1030"
	.amdhsa_code_object_version 6
	.protected	bluestein_single_fwd_len980_dim1_dp_op_CI_CI ; -- Begin function bluestein_single_fwd_len980_dim1_dp_op_CI_CI
	.globl	bluestein_single_fwd_len980_dim1_dp_op_CI_CI
	.p2align	8
	.type	bluestein_single_fwd_len980_dim1_dp_op_CI_CI,@function
bluestein_single_fwd_len980_dim1_dp_op_CI_CI: ; @bluestein_single_fwd_len980_dim1_dp_op_CI_CI
; %bb.0:
	s_load_dwordx4 s[0:3], s[4:5], 0x28
	v_mul_u32_u24_e32 v1, 0x14f, v0
	v_mov_b32_e32 v97, 0
	v_lshrrev_b32_e32 v1, 16, v1
	v_add_nc_u32_e32 v96, s6, v1
	s_waitcnt lgkmcnt(0)
	v_cmp_gt_u64_e32 vcc_lo, s[0:1], v[96:97]
	s_and_saveexec_b32 s0, vcc_lo
	s_cbranch_execz .LBB0_31
; %bb.1:
	s_clause 0x1
	s_load_dwordx2 s[14:15], s[4:5], 0x0
	s_load_dwordx2 s[12:13], s[4:5], 0x38
	v_mul_lo_u16 v1, 0xc4, v1
	v_sub_nc_u16 v0, v0, v1
	v_and_b32_e32 v122, 0xffff, v0
	v_cmp_gt_u16_e32 vcc_lo, 0x8c, v0
	v_lshlrev_b32_e32 v121, 4, v122
	s_and_saveexec_b32 s1, vcc_lo
	s_cbranch_execz .LBB0_3
; %bb.2:
	s_load_dwordx2 s[6:7], s[4:5], 0x18
	s_waitcnt lgkmcnt(0)
	v_add_co_u32 v19, s0, s14, v121
	v_add_co_ci_u32_e64 v20, null, s15, 0, s0
	global_load_dwordx4 v[0:3], v121, s[14:15]
	v_add_co_u32 v4, s0, 0x800, v19
	v_add_co_ci_u32_e64 v5, s0, 0, v20, s0
	v_add_co_u32 v10, s0, 0x1000, v19
	v_add_co_ci_u32_e64 v11, s0, 0, v20, s0
	;; [unrolled: 2-line block ×3, first 2 shown]
	s_load_dwordx4 s[8:11], s[6:7], 0x0
	s_waitcnt lgkmcnt(0)
	v_mad_u64_u32 v[8:9], null, s10, v96, 0
	v_mad_u64_u32 v[12:13], null, s8, v122, 0
	s_mul_i32 s6, s9, 0x8c0
	s_mul_hi_u32 s7, s8, 0x8c0
	s_add_i32 s7, s7, s6
	v_mov_b32_e32 v6, v9
	v_mov_b32_e32 v7, v13
	v_mad_u64_u32 v[13:14], null, s11, v96, v[6:7]
	v_add_co_u32 v14, s0, 0x1800, v19
	v_mad_u64_u32 v[16:17], null, s9, v122, v[7:8]
	v_add_co_ci_u32_e64 v15, s0, 0, v20, s0
	v_add_co_u32 v17, s0, 0x2000, v19
	v_mov_b32_e32 v9, v13
	v_add_co_ci_u32_e64 v18, s0, 0, v20, s0
	v_add_co_u32 v40, s0, 0x2800, v19
	v_add_co_ci_u32_e64 v41, s0, 0, v20, s0
	v_mov_b32_e32 v13, v16
	v_lshlrev_b64 v[19:20], 4, v[8:9]
	s_clause 0x1
	global_load_dwordx4 v[4:7], v[4:5], off offset:192
	global_load_dwordx4 v[8:11], v[10:11], off offset:384
	v_lshlrev_b64 v[12:13], 4, v[12:13]
	v_add_co_u32 v16, s0, s2, v19
	v_add_co_ci_u32_e64 v19, s0, s3, v20, s0
	s_mul_i32 s2, s8, 0x8c0
	v_add_co_u32 v20, s0, v16, v12
	v_add_co_ci_u32_e64 v21, s0, v19, v13, s0
	s_clause 0x1
	global_load_dwordx4 v[12:15], v[14:15], off offset:576
	global_load_dwordx4 v[16:19], v[17:18], off offset:768
	v_add_co_u32 v24, s0, v20, s2
	v_add_co_ci_u32_e64 v25, s0, s7, v21, s0
	v_add_co_u32 v28, s0, v24, s2
	v_add_co_ci_u32_e64 v29, s0, s7, v25, s0
	s_clause 0x1
	global_load_dwordx4 v[20:23], v[20:21], off
	global_load_dwordx4 v[24:27], v[24:25], off
	v_add_co_u32 v32, s0, v28, s2
	v_add_co_ci_u32_e64 v33, s0, s7, v29, s0
	global_load_dwordx4 v[28:31], v[28:29], off
	v_add_co_u32 v36, s0, v32, s2
	v_add_co_ci_u32_e64 v37, s0, s7, v33, s0
	;; [unrolled: 3-line block ×3, first 2 shown]
	v_add_co_u32 v52, s0, v44, s2
	v_add_co_ci_u32_e64 v53, s0, s7, v45, s0
	global_load_dwordx4 v[36:39], v[36:37], off
	global_load_dwordx4 v[40:43], v[40:41], off offset:960
	global_load_dwordx4 v[44:47], v[44:45], off
	global_load_dwordx4 v[48:51], v[48:49], off offset:1152
	global_load_dwordx4 v[52:55], v[52:53], off
	s_waitcnt vmcnt(8)
	v_mul_f64 v[56:57], v[22:23], v[2:3]
	v_mul_f64 v[2:3], v[20:21], v[2:3]
	s_waitcnt vmcnt(7)
	v_mul_f64 v[58:59], v[26:27], v[6:7]
	v_mul_f64 v[6:7], v[24:25], v[6:7]
	;; [unrolled: 3-line block ×7, first 2 shown]
	v_fma_f64 v[18:19], v[20:21], v[0:1], v[56:57]
	v_fma_f64 v[20:21], v[22:23], v[0:1], -v[2:3]
	v_fma_f64 v[0:1], v[24:25], v[4:5], v[58:59]
	v_fma_f64 v[2:3], v[26:27], v[4:5], -v[6:7]
	;; [unrolled: 2-line block ×7, first 2 shown]
	ds_write_b128 v121, v[18:21]
	ds_write_b128 v121, v[0:3] offset:2240
	ds_write_b128 v121, v[4:7] offset:4480
	;; [unrolled: 1-line block ×6, first 2 shown]
.LBB0_3:
	s_or_b32 exec_lo, exec_lo, s1
	s_clause 0x1
	s_load_dwordx2 s[0:1], s[4:5], 0x20
	s_load_dwordx2 s[2:3], s[4:5], 0x8
	s_waitcnt lgkmcnt(0)
	s_barrier
	buffer_gl0_inv
                                        ; implicit-def: $vgpr0_vgpr1
                                        ; implicit-def: $vgpr8_vgpr9
                                        ; implicit-def: $vgpr16_vgpr17
                                        ; implicit-def: $vgpr24_vgpr25
                                        ; implicit-def: $vgpr20_vgpr21
                                        ; implicit-def: $vgpr12_vgpr13
                                        ; implicit-def: $vgpr4_vgpr5
	s_and_saveexec_b32 s4, vcc_lo
	s_cbranch_execz .LBB0_5
; %bb.4:
	ds_read_b128 v[0:3], v121
	ds_read_b128 v[4:7], v121 offset:2240
	ds_read_b128 v[12:15], v121 offset:4480
	;; [unrolled: 1-line block ×6, first 2 shown]
.LBB0_5:
	s_or_b32 exec_lo, exec_lo, s4
	s_waitcnt lgkmcnt(0)
	v_add_f64 v[28:29], v[24:25], v[4:5]
	v_add_f64 v[30:31], v[26:27], v[6:7]
	;; [unrolled: 1-line block ×4, first 2 shown]
	v_add_f64 v[12:13], v[12:13], -v[20:21]
	v_add_f64 v[14:15], v[14:15], -v[22:23]
	v_add_f64 v[20:21], v[8:9], v[16:17]
	v_add_f64 v[8:9], v[16:17], -v[8:9]
	v_add_f64 v[16:17], v[18:19], -v[10:11]
	v_add_f64 v[18:19], v[10:11], v[18:19]
	v_add_f64 v[22:23], v[4:5], -v[24:25]
	v_add_f64 v[24:25], v[6:7], -v[26:27]
	s_mov_b32 s6, 0xe976ee23
	s_mov_b32 s7, 0xbfe11646
	;; [unrolled: 1-line block ×8, first 2 shown]
	v_mul_lo_u16 v125, v122, 7
	s_barrier
	buffer_gl0_inv
	v_add_f64 v[4:5], v[32:33], v[28:29]
	v_add_f64 v[6:7], v[34:35], v[30:31]
	v_add_f64 v[10:11], v[28:29], -v[20:21]
	v_add_f64 v[26:27], v[8:9], -v[12:13]
	;; [unrolled: 1-line block ×8, first 2 shown]
	v_add_f64 v[50:51], v[16:17], v[14:15]
	v_add_f64 v[14:15], v[34:35], -v[30:31]
	v_add_f64 v[16:17], v[20:21], -v[32:33]
	v_add_f64 v[44:45], v[20:21], v[4:5]
	v_add_f64 v[46:47], v[18:19], v[6:7]
	v_add_f64 v[6:7], v[32:33], -v[28:29]
	v_add_f64 v[28:29], v[8:9], v[12:13]
	v_mul_f64 v[56:57], v[10:11], s[4:5]
	v_mul_f64 v[8:9], v[26:27], s[6:7]
	;; [unrolled: 1-line block ×6, first 2 shown]
	v_add_f64 v[20:21], v[18:19], -v[34:35]
	s_mov_b32 s4, 0x36b3c0b5
	s_mov_b32 s8, 0xaaaaaaaa
	;; [unrolled: 1-line block ×6, first 2 shown]
	v_add_f64 v[50:51], v[50:51], v[24:25]
	v_add_f64 v[0:1], v[0:1], v[44:45]
	;; [unrolled: 1-line block ×4, first 2 shown]
	v_fma_f64 v[24:25], v[6:7], s[6:7], -v[56:57]
	v_fma_f64 v[18:19], v[52:53], s[10:11], v[8:9]
	v_fma_f64 v[30:31], v[54:55], s[10:11], v[4:5]
	s_mov_b32 s11, 0xbfd5d0dc
	v_fma_f64 v[38:39], v[14:15], s[6:7], -v[26:27]
	v_fma_f64 v[32:33], v[52:53], s[10:11], -v[12:13]
	;; [unrolled: 1-line block ×3, first 2 shown]
	v_fma_f64 v[42:43], v[16:17], s[4:5], v[56:57]
	v_fma_f64 v[28:29], v[44:45], s[8:9], v[0:1]
	;; [unrolled: 1-line block ×4, first 2 shown]
	s_mov_b32 s8, 0x37c3f68c
	s_mov_b32 s9, 0x3fdc38aa
	v_fma_f64 v[22:23], v[48:49], s[8:9], v[18:19]
	v_fma_f64 v[18:19], v[50:51], s[8:9], v[30:31]
	;; [unrolled: 1-line block ×4, first 2 shown]
	v_add_f64 v[32:33], v[24:25], v[28:29]
	v_add_f64 v[38:39], v[38:39], v[36:37]
	v_add_f64 v[24:25], v[42:43], v[28:29]
	v_add_f64 v[30:31], v[44:45], v[36:37]
	v_add_f64 v[40:41], v[32:33], -v[26:27]
	v_add_f64 v[42:43], v[34:35], v[38:39]
	v_add_f64 v[44:45], v[24:25], -v[18:19]
	v_add_f64 v[46:47], v[22:23], v[30:31]
	s_and_saveexec_b32 s10, vcc_lo
	s_cbranch_execz .LBB0_7
; %bb.6:
	s_mov_b32 s7, 0x3fe77f67
	v_mul_f64 v[20:21], v[20:21], s[4:5]
	v_mul_f64 v[14:15], v[14:15], s[6:7]
	;; [unrolled: 1-line block ×6, first 2 shown]
	v_add_f64 v[8:9], v[12:13], -v[8:9]
	v_add_f64 v[4:5], v[10:11], -v[4:5]
	;; [unrolled: 1-line block ×5, first 2 shown]
	v_add_f64 v[16:17], v[48:49], v[8:9]
	v_add_f64 v[20:21], v[50:51], v[4:5]
	;; [unrolled: 1-line block ×6, first 2 shown]
	v_add_f64 v[6:7], v[38:39], -v[34:35]
	v_add_f64 v[14:15], v[12:13], -v[16:17]
	v_add_f64 v[18:19], v[16:17], v[12:13]
	v_add_f64 v[16:17], v[28:29], -v[20:21]
	v_add_f64 v[12:13], v[28:29], v[20:21]
	v_mov_b32_e32 v20, 4
	v_lshlrev_b32_sdwa v20, v20, v125 dst_sel:DWORD dst_unused:UNUSED_PAD src0_sel:DWORD src1_sel:WORD_0
	ds_write_b128 v20, v[0:3]
	ds_write_b128 v20, v[40:43] offset:80
	ds_write_b128 v20, v[8:11] offset:16
	ds_write_b128 v20, v[4:7] offset:32
	ds_write_b128 v20, v[16:19] offset:48
	ds_write_b128 v20, v[12:15] offset:64
	ds_write_b128 v20, v[44:47] offset:96
.LBB0_7:
	s_or_b32 exec_lo, exec_lo, s10
	v_and_b32_e32 v16, 0xff, v122
	s_load_dwordx4 s[4:7], s[0:1], 0x0
	s_waitcnt lgkmcnt(0)
	s_barrier
	buffer_gl0_inv
	v_mul_lo_u16 v0, v16, 37
	s_mov_b32 s0, 0x134454ff
	s_mov_b32 s1, 0x3fee6f0e
	;; [unrolled: 1-line block ×4, first 2 shown]
	v_lshrrev_b16 v0, 8, v0
	v_sub_nc_u16 v1, v122, v0
	v_lshrrev_b16 v1, 1, v1
	v_and_b32_e32 v1, 0x7f, v1
	v_add_nc_u16 v0, v1, v0
	v_lshrrev_b16 v39, 2, v0
	v_mul_lo_u16 v0, v39, 7
	v_sub_nc_u16 v0, v122, v0
	v_and_b32_e32 v78, 0xff, v0
	v_lshlrev_b32_e32 v0, 6, v78
	s_clause 0x3
	global_load_dwordx4 v[12:15], v0, s[2:3]
	global_load_dwordx4 v[8:11], v0, s[2:3] offset:16
	global_load_dwordx4 v[4:7], v0, s[2:3] offset:32
	;; [unrolled: 1-line block ×3, first 2 shown]
	ds_read_b128 v[17:20], v121 offset:3136
	ds_read_b128 v[21:24], v121 offset:6272
	;; [unrolled: 1-line block ×4, first 2 shown]
	ds_read_b128 v[33:36], v121
	s_waitcnt vmcnt(0) lgkmcnt(0)
	s_barrier
	buffer_gl0_inv
	v_mul_f64 v[37:38], v[19:20], v[14:15]
	v_mul_f64 v[48:49], v[23:24], v[10:11]
	;; [unrolled: 1-line block ×8, first 2 shown]
	v_fma_f64 v[17:18], v[17:18], v[12:13], -v[37:38]
	v_fma_f64 v[21:22], v[21:22], v[8:9], -v[48:49]
	;; [unrolled: 1-line block ×3, first 2 shown]
	v_fma_f64 v[19:20], v[19:20], v[12:13], v[52:53]
	v_fma_f64 v[29:30], v[29:30], v[0:1], -v[54:55]
	v_fma_f64 v[23:24], v[23:24], v[8:9], v[56:57]
	v_fma_f64 v[27:28], v[27:28], v[4:5], v[58:59]
	;; [unrolled: 1-line block ×3, first 2 shown]
	v_add_f64 v[54:55], v[33:34], v[17:18]
	v_add_f64 v[37:38], v[21:22], v[25:26]
	;; [unrolled: 1-line block ×4, first 2 shown]
	v_add_f64 v[62:63], v[17:18], -v[29:30]
	v_add_f64 v[50:51], v[23:24], v[27:28]
	v_add_f64 v[52:53], v[19:20], v[31:32]
	v_add_f64 v[58:59], v[19:20], -v[31:32]
	v_add_f64 v[60:61], v[23:24], -v[27:28]
	;; [unrolled: 1-line block ×8, first 2 shown]
	v_fma_f64 v[37:38], v[37:38], -0.5, v[33:34]
	v_add_f64 v[23:24], v[56:57], v[23:24]
	v_fma_f64 v[33:34], v[48:49], -0.5, v[33:34]
	v_add_f64 v[48:49], v[21:22], -v[25:26]
	v_fma_f64 v[50:51], v[50:51], -0.5, v[35:36]
	v_fma_f64 v[35:36], v[52:53], -0.5, v[35:36]
	v_add_f64 v[52:53], v[17:18], -v[21:22]
	v_add_f64 v[17:18], v[21:22], -v[17:18]
	v_add_f64 v[21:22], v[54:55], v[21:22]
	v_add_f64 v[19:20], v[19:20], v[72:73]
	v_fma_f64 v[54:55], v[58:59], s[0:1], v[37:38]
	v_fma_f64 v[37:38], v[58:59], s[8:9], v[37:38]
	;; [unrolled: 1-line block ×8, first 2 shown]
	s_mov_b32 s0, 0x4755a5e
	s_mov_b32 s1, 0x3fe2cf23
	;; [unrolled: 1-line block ×4, first 2 shown]
	v_add_f64 v[64:65], v[52:53], v[64:65]
	v_add_f64 v[17:18], v[17:18], v[66:67]
	;; [unrolled: 1-line block ×5, first 2 shown]
	v_fma_f64 v[25:26], v[60:61], s[0:1], v[54:55]
	v_fma_f64 v[27:28], v[60:61], s[8:9], v[37:38]
	;; [unrolled: 1-line block ×8, first 2 shown]
	s_mov_b32 s0, 0x372fe950
	s_mov_b32 s1, 0x3fd3c6ef
	v_add_f64 v[48:49], v[21:22], v[29:30]
	v_add_f64 v[50:51], v[23:24], v[31:32]
	v_fma_f64 v[52:53], v[64:65], s[0:1], v[25:26]
	v_fma_f64 v[64:65], v[64:65], s[0:1], v[27:28]
	;; [unrolled: 1-line block ×8, first 2 shown]
	v_mov_b32_e32 v17, 35
	v_mul_u32_u24_sdwa v17, v39, v17 dst_sel:DWORD dst_unused:UNUSED_PAD src0_sel:WORD_0 src1_sel:DWORD
	v_add_lshl_u32 v126, v17, v78, 4
	ds_write_b128 v126, v[48:51]
	ds_write_b128 v126, v[52:55] offset:112
	ds_write_b128 v126, v[56:59] offset:224
	ds_write_b128 v126, v[60:63] offset:336
	ds_write_b128 v126, v[64:67] offset:448
	s_waitcnt lgkmcnt(0)
	s_barrier
	buffer_gl0_inv
	s_and_saveexec_b32 s0, vcc_lo
	s_cbranch_execz .LBB0_9
; %bb.8:
	ds_read_b128 v[48:51], v121
	ds_read_b128 v[52:55], v121 offset:2240
	ds_read_b128 v[56:59], v121 offset:4480
	ds_read_b128 v[60:63], v121 offset:6720
	ds_read_b128 v[64:67], v121 offset:8960
	ds_read_b128 v[40:43], v121 offset:11200
	ds_read_b128 v[44:47], v121 offset:13440
.LBB0_9:
	s_or_b32 exec_lo, exec_lo, s0
	v_mul_lo_u16 v16, 0xeb, v16
	s_mov_b32 s8, 0xe976ee23
	s_mov_b32 s0, 0x36b3c0b5
	;; [unrolled: 1-line block ×4, first 2 shown]
	v_lshrrev_b16 v123, 13, v16
	s_mov_b32 s10, 0x37e14327
	s_mov_b32 s11, 0x3fe948f6
	;; [unrolled: 1-line block ×4, first 2 shown]
	v_mul_lo_u16 v16, v123, 35
	s_mov_b32 s19, 0x3fd5d0dc
	s_mov_b32 s18, 0xb247c609
	v_sub_nc_u16 v16, v122, v16
	v_and_b32_e32 v124, 0xff, v16
	v_mad_u64_u32 v[28:29], null, 0x60, v124, s[2:3]
	s_clause 0x5
	global_load_dwordx4 v[20:23], v[28:29], off offset:448
	global_load_dwordx4 v[16:19], v[28:29], off offset:464
	;; [unrolled: 1-line block ×6, first 2 shown]
	s_waitcnt vmcnt(0) lgkmcnt(0)
	s_barrier
	buffer_gl0_inv
	v_mul_f64 v[68:69], v[54:55], v[22:23]
	v_mul_f64 v[70:71], v[52:53], v[22:23]
	;; [unrolled: 1-line block ×12, first 2 shown]
	v_fma_f64 v[52:53], v[52:53], v[20:21], -v[68:69]
	v_fma_f64 v[54:55], v[54:55], v[20:21], v[70:71]
	v_fma_f64 v[56:57], v[56:57], v[16:17], -v[72:73]
	v_fma_f64 v[58:59], v[58:59], v[16:17], v[74:75]
	;; [unrolled: 2-line block ×6, first 2 shown]
	v_add_f64 v[68:69], v[52:53], v[44:45]
	v_add_f64 v[70:71], v[54:55], v[46:47]
	;; [unrolled: 1-line block ×4, first 2 shown]
	v_add_f64 v[40:41], v[56:57], -v[40:41]
	v_add_f64 v[42:43], v[58:59], -v[42:43]
	v_add_f64 v[56:57], v[60:61], v[64:65]
	v_add_f64 v[58:59], v[64:65], -v[60:61]
	v_add_f64 v[60:61], v[66:67], -v[62:63]
	v_add_f64 v[76:77], v[62:63], v[66:67]
	;; [unrolled: 3-line block ×3, first 2 shown]
	v_add_f64 v[54:55], v[74:75], v[70:71]
	v_add_f64 v[62:63], v[56:57], -v[72:73]
	v_add_f64 v[66:67], v[58:59], -v[40:41]
	v_add_f64 v[78:79], v[60:61], -v[42:43]
	v_add_f64 v[64:65], v[76:77], -v[74:75]
	v_add_f64 v[80:81], v[40:41], -v[44:45]
	v_add_f64 v[82:83], v[42:43], -v[46:47]
	v_add_f64 v[52:53], v[56:57], v[52:53]
	v_add_f64 v[54:55], v[76:77], v[54:55]
	v_add_f64 v[56:57], v[68:69], -v[56:57]
	v_add_f64 v[76:77], v[70:71], -v[76:77]
	v_add_f64 v[68:69], v[72:73], -v[68:69]
	v_mul_f64 v[66:67], v[66:67], s[8:9]
	v_mul_f64 v[78:79], v[78:79], s[8:9]
	s_mov_b32 s8, 0x429ad128
	v_add_f64 v[70:71], v[74:75], -v[70:71]
	v_add_f64 v[72:73], v[58:59], v[40:41]
	v_add_f64 v[74:75], v[60:61], v[42:43]
	v_add_f64 v[58:59], v[44:45], -v[58:59]
	v_add_f64 v[60:61], v[46:47], -v[60:61]
	v_mul_f64 v[84:85], v[62:63], s[0:1]
	v_mul_f64 v[86:87], v[64:65], s[0:1]
	s_mov_b32 s9, 0x3febfeb5
	v_mul_f64 v[88:89], v[80:81], s[8:9]
	v_mul_f64 v[90:91], v[82:83], s[8:9]
	v_add_f64 v[40:41], v[48:49], v[52:53]
	v_add_f64 v[42:43], v[50:51], v[54:55]
	v_mul_f64 v[48:49], v[56:57], s[10:11]
	v_mul_f64 v[50:51], v[76:77], s[10:11]
	s_mov_b32 s10, 0xaaaaaaaa
	s_mov_b32 s11, 0xbff2aaaa
	v_add_f64 v[56:57], v[72:73], v[44:45]
	v_add_f64 v[72:73], v[74:75], v[46:47]
	v_fma_f64 v[44:45], v[58:59], s[18:19], v[66:67]
	v_fma_f64 v[46:47], v[60:61], s[18:19], v[78:79]
	v_fma_f64 v[74:75], v[68:69], s[16:17], -v[84:85]
	v_fma_f64 v[76:77], v[70:71], s[16:17], -v[86:87]
	s_mov_b32 s17, 0xbfe77f67
	s_mov_b32 s19, 0xbfd5d0dc
	v_fma_f64 v[66:67], v[80:81], s[8:9], -v[66:67]
	v_fma_f64 v[78:79], v[82:83], s[8:9], -v[78:79]
	;; [unrolled: 1-line block ×4, first 2 shown]
	v_fma_f64 v[80:81], v[52:53], s[10:11], v[40:41]
	v_fma_f64 v[82:83], v[54:55], s[10:11], v[42:43]
	v_fma_f64 v[54:55], v[68:69], s[16:17], -v[48:49]
	v_fma_f64 v[68:69], v[70:71], s[16:17], -v[50:51]
	v_fma_f64 v[70:71], v[62:63], s[0:1], v[48:49]
	v_fma_f64 v[64:65], v[64:65], s[0:1], v[50:51]
	s_mov_b32 s0, 0x37c3f68c
	s_mov_b32 s1, 0x3fdc38aa
	v_fma_f64 v[48:49], v[56:57], s[0:1], v[44:45]
	v_fma_f64 v[44:45], v[72:73], s[0:1], v[46:47]
	;; [unrolled: 1-line block ×6, first 2 shown]
	v_add_f64 v[50:51], v[74:75], v[80:81]
	v_add_f64 v[78:79], v[76:77], v[82:83]
	;; [unrolled: 1-line block ×7, first 2 shown]
	v_add_f64 v[66:67], v[78:79], -v[62:63]
	v_add_f64 v[68:69], v[54:55], -v[52:53]
	v_add_f64 v[70:71], v[58:59], v[76:77]
	v_add_f64 v[72:73], v[56:57], -v[44:45]
	v_add_f64 v[74:75], v[48:49], v[60:61]
	s_and_saveexec_b32 s0, vcc_lo
	s_cbranch_execz .LBB0_11
; %bb.10:
	v_add_f64 v[62:63], v[62:63], v[78:79]
	v_add_f64 v[58:59], v[76:77], -v[58:59]
	v_add_f64 v[78:79], v[60:61], -v[48:49]
	v_add_f64 v[76:77], v[44:45], v[56:57]
	v_add_f64 v[56:57], v[52:53], v[54:55]
	v_add_f64 v[60:61], v[50:51], -v[46:47]
	v_mov_b32_e32 v44, 0xf5
	v_mul_u32_u24_sdwa v44, v123, v44 dst_sel:DWORD dst_unused:UNUSED_PAD src0_sel:WORD_0 src1_sel:DWORD
	v_add_lshl_u32 v44, v44, v124, 4
	ds_write_b128 v44, v[40:43]
	ds_write_b128 v44, v[64:67] offset:2240
	ds_write_b128 v44, v[68:71] offset:2800
	;; [unrolled: 1-line block ×6, first 2 shown]
.LBB0_11:
	s_or_b32 exec_lo, exec_lo, s0
	s_waitcnt lgkmcnt(0)
	s_barrier
	buffer_gl0_inv
	ds_read_b128 v[76:79], v121
	ds_read_b128 v[88:91], v121 offset:3920
	ds_read_b128 v[84:87], v121 offset:7840
	;; [unrolled: 1-line block ×3, first 2 shown]
	v_cmp_gt_u16_e64 s0, 49, v122
                                        ; implicit-def: $vgpr92_vgpr93
	s_and_saveexec_b32 s1, s0
	s_cbranch_execz .LBB0_13
; %bb.12:
	ds_read_b128 v[64:67], v121 offset:3136
	ds_read_b128 v[68:71], v121 offset:7056
	;; [unrolled: 1-line block ×4, first 2 shown]
.LBB0_13:
	s_or_b32 exec_lo, exec_lo, s1
	v_add_nc_u32_e32 v42, 0xc4, v122
	v_subrev_nc_u32_e32 v43, 49, v122
	v_mad_u64_u32 v[40:41], null, v122, 48, s[2:3]
	v_cndmask_b32_e64 v44, v43, v42, s0
	v_add_co_u32 v42, s1, 0x800, v40
	v_mul_i32_i24_e32 v45, 48, v44
	v_add_co_ci_u32_e64 v43, s1, 0, v41, s1
	v_add_co_u32 v40, s1, 0xee0, v40
	v_mul_hi_i32_i24_e32 v44, 48, v44
	v_add_co_ci_u32_e64 v41, s1, 0, v41, s1
	v_add_co_u32 v45, s1, s2, v45
	v_add_co_ci_u32_e64 v46, s1, s3, v44, s1
	s_clause 0x1
	global_load_dwordx4 v[52:55], v[42:43], off offset:1760
	global_load_dwordx4 v[56:59], v[40:41], off offset:16
	v_add_co_u32 v42, s1, 0x800, v45
	v_add_co_ci_u32_e64 v43, s1, 0, v46, s1
	v_add_co_u32 v44, s1, 0xee0, v45
	v_add_co_ci_u32_e64 v45, s1, 0, v46, s1
	s_clause 0x3
	global_load_dwordx4 v[60:63], v[40:41], off offset:32
	global_load_dwordx4 v[40:43], v[42:43], off offset:1760
	;; [unrolled: 1-line block ×4, first 2 shown]
	s_waitcnt vmcnt(5) lgkmcnt(2)
	v_mul_f64 v[97:98], v[90:91], v[54:55]
	v_mul_f64 v[99:100], v[88:89], v[54:55]
	s_waitcnt vmcnt(4) lgkmcnt(1)
	v_mul_f64 v[101:102], v[86:87], v[58:59]
	v_mul_f64 v[103:104], v[84:85], v[58:59]
	s_waitcnt vmcnt(3) lgkmcnt(0)
	v_mul_f64 v[105:106], v[82:83], v[62:63]
	v_mul_f64 v[107:108], v[80:81], v[62:63]
	s_waitcnt vmcnt(2)
	v_mul_f64 v[109:110], v[70:71], v[42:43]
	v_mul_f64 v[111:112], v[68:69], v[42:43]
	s_waitcnt vmcnt(1)
	v_mul_f64 v[113:114], v[74:75], v[50:51]
	v_mul_f64 v[115:116], v[72:73], v[50:51]
	;; [unrolled: 3-line block ×3, first 2 shown]
	v_fma_f64 v[88:89], v[88:89], v[52:53], -v[97:98]
	v_fma_f64 v[90:91], v[90:91], v[52:53], v[99:100]
	v_fma_f64 v[84:85], v[84:85], v[56:57], -v[101:102]
	v_fma_f64 v[86:87], v[86:87], v[56:57], v[103:104]
	;; [unrolled: 2-line block ×6, first 2 shown]
	v_add_f64 v[84:85], v[76:77], -v[84:85]
	v_add_f64 v[86:87], v[78:79], -v[86:87]
	;; [unrolled: 1-line block ×8, first 2 shown]
	v_fma_f64 v[92:93], v[76:77], 2.0, -v[84:85]
	v_fma_f64 v[94:95], v[78:79], 2.0, -v[86:87]
	;; [unrolled: 1-line block ×4, first 2 shown]
	v_add_f64 v[80:81], v[84:85], -v[80:81]
	v_add_f64 v[82:83], v[86:87], v[97:98]
	v_fma_f64 v[103:104], v[64:65], 2.0, -v[99:100]
	v_fma_f64 v[105:106], v[66:67], 2.0, -v[101:102]
	;; [unrolled: 1-line block ×4, first 2 shown]
	v_add_f64 v[64:65], v[99:100], -v[74:75]
	v_add_f64 v[76:77], v[92:93], -v[76:77]
	;; [unrolled: 1-line block ×3, first 2 shown]
	v_fma_f64 v[74:75], v[86:87], 2.0, -v[82:83]
	v_add_f64 v[88:89], v[103:104], -v[66:67]
	v_add_f64 v[90:91], v[105:106], -v[68:69]
	v_add_f64 v[66:67], v[101:102], v[72:73]
	v_fma_f64 v[72:73], v[84:85], 2.0, -v[80:81]
	v_fma_f64 v[68:69], v[92:93], 2.0, -v[76:77]
	;; [unrolled: 1-line block ×4, first 2 shown]
	ds_write_b128 v121, v[68:71]
	ds_write_b128 v121, v[72:75] offset:3920
	ds_write_b128 v121, v[76:79] offset:7840
	;; [unrolled: 1-line block ×3, first 2 shown]
	v_fma_f64 v[84:85], v[103:104], 2.0, -v[88:89]
	v_fma_f64 v[86:87], v[105:106], 2.0, -v[90:91]
	;; [unrolled: 1-line block ×3, first 2 shown]
	s_and_saveexec_b32 s1, s0
	s_cbranch_execz .LBB0_15
; %bb.14:
	ds_write_b128 v121, v[84:87] offset:3136
	ds_write_b128 v121, v[92:95] offset:7056
	;; [unrolled: 1-line block ×4, first 2 shown]
.LBB0_15:
	s_or_b32 exec_lo, exec_lo, s1
	s_waitcnt lgkmcnt(0)
	s_barrier
	buffer_gl0_inv
	s_and_saveexec_b32 s2, vcc_lo
	s_cbranch_execz .LBB0_17
; %bb.16:
	v_add_co_u32 v115, s1, s14, v121
	v_add_co_ci_u32_e64 v116, null, s15, 0, s1
	v_add_co_u32 v97, s1, 0x3800, v115
	v_add_co_ci_u32_e64 v98, s1, 0, v116, s1
	v_add_co_u32 v101, s1, 0x4000, v115
	v_add_co_ci_u32_e64 v102, s1, 0, v116, s1
	;; [unrolled: 2-line block ×6, first 2 shown]
	v_add_co_u32 v127, s1, 0x7000, v115
	s_clause 0x3
	global_load_dwordx4 v[97:100], v[97:98], off offset:1344
	global_load_dwordx4 v[101:104], v[101:102], off offset:1536
	;; [unrolled: 1-line block ×4, first 2 shown]
	v_add_co_ci_u32_e64 v128, s1, 0, v116, s1
	s_clause 0x2
	global_load_dwordx4 v[113:116], v[113:114], off offset:64
	global_load_dwordx4 v[117:120], v[117:118], off offset:256
	;; [unrolled: 1-line block ×3, first 2 shown]
	ds_read_b128 v[131:134], v121
	ds_read_b128 v[135:138], v121 offset:2240
	ds_read_b128 v[139:142], v121 offset:4480
	;; [unrolled: 1-line block ×6, first 2 shown]
	s_waitcnt vmcnt(6) lgkmcnt(6)
	v_mul_f64 v[159:160], v[133:134], v[99:100]
	v_mul_f64 v[99:100], v[131:132], v[99:100]
	s_waitcnt vmcnt(5) lgkmcnt(5)
	v_mul_f64 v[161:162], v[137:138], v[103:104]
	v_mul_f64 v[103:104], v[135:136], v[103:104]
	s_waitcnt vmcnt(4) lgkmcnt(4)
	v_mul_f64 v[163:164], v[141:142], v[107:108]
	v_mul_f64 v[107:108], v[139:140], v[107:108]
	s_waitcnt vmcnt(3) lgkmcnt(3)
	v_mul_f64 v[165:166], v[145:146], v[111:112]
	v_mul_f64 v[111:112], v[143:144], v[111:112]
	s_waitcnt vmcnt(2) lgkmcnt(2)
	v_mul_f64 v[167:168], v[149:150], v[115:116]
	v_mul_f64 v[115:116], v[147:148], v[115:116]
	s_waitcnt vmcnt(1) lgkmcnt(1)
	v_mul_f64 v[169:170], v[153:154], v[119:120]
	v_mul_f64 v[119:120], v[151:152], v[119:120]
	s_waitcnt vmcnt(0) lgkmcnt(0)
	v_mul_f64 v[171:172], v[157:158], v[129:130]
	v_mul_f64 v[173:174], v[155:156], v[129:130]
	v_fma_f64 v[129:130], v[131:132], v[97:98], -v[159:160]
	v_fma_f64 v[131:132], v[133:134], v[97:98], v[99:100]
	v_fma_f64 v[97:98], v[135:136], v[101:102], -v[161:162]
	v_fma_f64 v[99:100], v[137:138], v[101:102], v[103:104]
	v_fma_f64 v[101:102], v[139:140], v[105:106], -v[163:164]
	v_fma_f64 v[103:104], v[141:142], v[105:106], v[107:108]
	v_fma_f64 v[105:106], v[143:144], v[109:110], -v[165:166]
	v_fma_f64 v[107:108], v[145:146], v[109:110], v[111:112]
	v_fma_f64 v[109:110], v[147:148], v[113:114], -v[167:168]
	v_fma_f64 v[111:112], v[149:150], v[113:114], v[115:116]
	v_fma_f64 v[113:114], v[151:152], v[117:118], -v[169:170]
	v_fma_f64 v[115:116], v[153:154], v[117:118], v[119:120]
	v_fma_f64 v[117:118], v[155:156], v[127:128], -v[171:172]
	v_fma_f64 v[119:120], v[157:158], v[127:128], v[173:174]
	ds_write_b128 v121, v[129:132]
	ds_write_b128 v121, v[97:100] offset:2240
	ds_write_b128 v121, v[101:104] offset:4480
	;; [unrolled: 1-line block ×6, first 2 shown]
.LBB0_17:
	s_or_b32 exec_lo, exec_lo, s2
	s_waitcnt lgkmcnt(0)
	s_barrier
	buffer_gl0_inv
	s_and_saveexec_b32 s1, vcc_lo
	s_cbranch_execz .LBB0_19
; %bb.18:
	ds_read_b128 v[68:71], v121
	ds_read_b128 v[72:75], v121 offset:2240
	ds_read_b128 v[76:79], v121 offset:4480
	;; [unrolled: 1-line block ×6, first 2 shown]
.LBB0_19:
	s_or_b32 exec_lo, exec_lo, s1
	s_waitcnt lgkmcnt(0)
	v_add_f64 v[97:98], v[88:89], v[72:73]
	v_add_f64 v[99:100], v[90:91], v[74:75]
	v_add_f64 v[101:102], v[92:93], v[76:77]
	v_add_f64 v[103:104], v[94:95], v[78:79]
	v_add_f64 v[76:77], v[76:77], -v[92:93]
	v_add_f64 v[78:79], v[78:79], -v[94:95]
	v_add_f64 v[92:93], v[80:81], v[84:85]
	v_add_f64 v[80:81], v[84:85], -v[80:81]
	v_add_f64 v[84:85], v[86:87], -v[82:83]
	v_add_f64 v[94:95], v[82:83], v[86:87]
	v_add_f64 v[72:73], v[72:73], -v[88:89]
	v_add_f64 v[74:75], v[74:75], -v[90:91]
	s_mov_b32 s8, 0xe976ee23
	s_mov_b32 s9, 0x3fe11646
	;; [unrolled: 1-line block ×8, first 2 shown]
	s_barrier
	buffer_gl0_inv
	v_add_f64 v[82:83], v[101:102], v[97:98]
	v_add_f64 v[86:87], v[103:104], v[99:100]
	v_add_f64 v[88:89], v[97:98], -v[92:93]
	v_add_f64 v[90:91], v[80:81], -v[76:77]
	;; [unrolled: 1-line block ×6, first 2 shown]
	v_add_f64 v[117:118], v[80:81], v[76:77]
	v_add_f64 v[119:120], v[84:85], v[78:79]
	v_add_f64 v[127:128], v[72:73], -v[80:81]
	v_add_f64 v[129:130], v[74:75], -v[84:85]
	v_add_f64 v[113:114], v[92:93], v[82:83]
	v_add_f64 v[115:116], v[94:95], v[86:87]
	v_add_f64 v[82:83], v[101:102], -v[97:98]
	v_add_f64 v[92:93], v[92:93], -v[101:102]
	v_mul_f64 v[131:132], v[88:89], s[2:3]
	v_mul_f64 v[84:85], v[90:91], s[8:9]
	;; [unrolled: 1-line block ×3, first 2 shown]
	v_add_f64 v[90:91], v[103:104], -v[99:100]
	v_mul_f64 v[99:100], v[107:108], s[2:3]
	v_mul_f64 v[88:89], v[109:110], s[10:11]
	;; [unrolled: 1-line block ×3, first 2 shown]
	v_add_f64 v[97:98], v[94:95], -v[103:104]
	s_mov_b32 s2, 0x36b3c0b5
	s_mov_b32 s10, 0xaaaaaaaa
	;; [unrolled: 1-line block ×6, first 2 shown]
	v_add_f64 v[117:118], v[117:118], v[72:73]
	v_add_f64 v[119:120], v[119:120], v[74:75]
	;; [unrolled: 1-line block ×4, first 2 shown]
	v_fma_f64 v[68:69], v[82:83], s[8:9], -v[131:132]
	v_fma_f64 v[70:71], v[127:128], s[16:17], v[84:85]
	v_fma_f64 v[72:73], v[129:130], s[16:17], v[80:81]
	s_mov_b32 s17, 0x3fd5d0dc
	v_fma_f64 v[74:75], v[90:91], s[8:9], -v[99:100]
	v_fma_f64 v[101:102], v[127:128], s[16:17], -v[88:89]
	v_fma_f64 v[103:104], v[129:130], s[16:17], -v[86:87]
	v_fma_f64 v[107:108], v[92:93], s[2:3], v[131:132]
	v_fma_f64 v[127:128], v[97:98], s[2:3], v[99:100]
	;; [unrolled: 1-line block ×4, first 2 shown]
	s_mov_b32 s10, 0x37c3f68c
	s_mov_b32 s11, 0xbfdc38aa
	v_fma_f64 v[99:100], v[117:118], s[10:11], v[70:71]
	v_fma_f64 v[94:95], v[119:120], s[10:11], v[72:73]
	;; [unrolled: 1-line block ×4, first 2 shown]
	v_add_f64 v[109:110], v[68:69], v[105:106]
	v_add_f64 v[115:116], v[74:75], v[113:114]
	;; [unrolled: 1-line block ×4, first 2 shown]
	v_add_f64 v[68:69], v[109:110], -v[103:104]
	v_add_f64 v[70:71], v[111:112], v[115:116]
	v_add_f64 v[72:73], v[101:102], -v[94:95]
	v_add_f64 v[74:75], v[99:100], v[107:108]
	s_and_saveexec_b32 s1, vcc_lo
	s_cbranch_execz .LBB0_21
; %bb.20:
	s_mov_b32 s9, 0x3fe77f67
	v_mul_f64 v[97:98], v[97:98], s[2:3]
	v_mul_f64 v[90:91], v[90:91], s[8:9]
	;; [unrolled: 1-line block ×6, first 2 shown]
	v_add_f64 v[84:85], v[88:89], -v[84:85]
	v_add_f64 v[80:81], v[86:87], -v[80:81]
	;; [unrolled: 1-line block ×5, first 2 shown]
	v_add_f64 v[92:93], v[117:118], v[84:85]
	v_add_f64 v[97:98], v[119:120], v[80:81]
	;; [unrolled: 1-line block ×6, first 2 shown]
	v_add_f64 v[82:83], v[115:116], -v[111:112]
	v_add_f64 v[90:91], v[88:89], -v[92:93]
	v_add_f64 v[94:95], v[92:93], v[88:89]
	v_add_f64 v[92:93], v[105:106], -v[97:98]
	v_add_f64 v[88:89], v[105:106], v[97:98]
	v_mov_b32_e32 v97, 4
	v_lshlrev_b32_sdwa v97, v97, v125 dst_sel:DWORD dst_unused:UNUSED_PAD src0_sel:DWORD src1_sel:WORD_0
	ds_write_b128 v97, v[76:79]
	ds_write_b128 v97, v[68:71] offset:80
	ds_write_b128 v97, v[84:87] offset:16
	;; [unrolled: 1-line block ×6, first 2 shown]
.LBB0_21:
	s_or_b32 exec_lo, exec_lo, s1
	s_waitcnt lgkmcnt(0)
	s_barrier
	buffer_gl0_inv
	ds_read_b128 v[76:79], v121 offset:3136
	ds_read_b128 v[80:83], v121 offset:6272
	;; [unrolled: 1-line block ×4, first 2 shown]
	s_mov_b32 s2, 0x134454ff
	s_mov_b32 s3, 0xbfee6f0e
	;; [unrolled: 1-line block ×4, first 2 shown]
	s_waitcnt lgkmcnt(3)
	v_mul_f64 v[92:93], v[14:15], v[78:79]
	s_waitcnt lgkmcnt(2)
	v_mul_f64 v[94:95], v[10:11], v[82:83]
	;; [unrolled: 2-line block ×3, first 2 shown]
	v_mul_f64 v[14:15], v[14:15], v[76:77]
	s_waitcnt lgkmcnt(0)
	v_mul_f64 v[99:100], v[2:3], v[90:91]
	v_mul_f64 v[10:11], v[10:11], v[80:81]
	;; [unrolled: 1-line block ×4, first 2 shown]
	v_fma_f64 v[76:77], v[12:13], v[76:77], v[92:93]
	v_fma_f64 v[80:81], v[8:9], v[80:81], v[94:95]
	;; [unrolled: 1-line block ×3, first 2 shown]
	v_fma_f64 v[12:13], v[12:13], v[78:79], -v[14:15]
	v_fma_f64 v[14:15], v[0:1], v[88:89], v[99:100]
	v_fma_f64 v[8:9], v[8:9], v[82:83], -v[10:11]
	v_fma_f64 v[4:5], v[4:5], v[86:87], -v[6:7]
	;; [unrolled: 1-line block ×3, first 2 shown]
	ds_read_b128 v[0:3], v121
	s_waitcnt lgkmcnt(0)
	s_barrier
	buffer_gl0_inv
	v_add_f64 v[10:11], v[80:81], v[84:85]
	v_add_f64 v[78:79], v[76:77], v[14:15]
	v_add_f64 v[97:98], v[76:77], -v[14:15]
	v_add_f64 v[82:83], v[8:9], v[4:5]
	v_add_f64 v[86:87], v[12:13], v[6:7]
	v_add_f64 v[88:89], v[0:1], v[76:77]
	v_add_f64 v[90:91], v[12:13], -v[6:7]
	v_add_f64 v[92:93], v[8:9], -v[4:5]
	v_add_f64 v[94:95], v[2:3], v[12:13]
	v_add_f64 v[99:100], v[14:15], -v[84:85]
	v_add_f64 v[101:102], v[84:85], -v[14:15]
	v_add_f64 v[103:104], v[12:13], -v[8:9]
	v_add_f64 v[105:106], v[6:7], -v[4:5]
	v_add_f64 v[12:13], v[8:9], -v[12:13]
	v_add_f64 v[107:108], v[4:5], -v[6:7]
	v_fma_f64 v[10:11], v[10:11], -0.5, v[0:1]
	v_fma_f64 v[0:1], v[78:79], -0.5, v[0:1]
	v_add_f64 v[78:79], v[80:81], -v[84:85]
	v_fma_f64 v[82:83], v[82:83], -0.5, v[2:3]
	v_fma_f64 v[2:3], v[86:87], -0.5, v[2:3]
	v_add_f64 v[86:87], v[76:77], -v[80:81]
	v_add_f64 v[76:77], v[80:81], -v[76:77]
	v_add_f64 v[80:81], v[88:89], v[80:81]
	v_add_f64 v[8:9], v[94:95], v[8:9]
	v_fma_f64 v[88:89], v[90:91], s[2:3], v[10:11]
	v_fma_f64 v[10:11], v[90:91], s[8:9], v[10:11]
	;; [unrolled: 1-line block ×8, first 2 shown]
	s_mov_b32 s2, 0x4755a5e
	s_mov_b32 s3, 0xbfe2cf23
	;; [unrolled: 1-line block ×4, first 2 shown]
	v_add_f64 v[86:87], v[86:87], v[99:100]
	v_add_f64 v[99:100], v[76:77], v[101:102]
	;; [unrolled: 1-line block ×6, first 2 shown]
	v_fma_f64 v[8:9], v[92:93], s[2:3], v[88:89]
	v_fma_f64 v[10:11], v[92:93], s[8:9], v[10:11]
	;; [unrolled: 1-line block ×8, first 2 shown]
	s_mov_b32 s2, 0x372fe950
	s_mov_b32 s3, 0x3fd3c6ef
	v_add_f64 v[0:1], v[12:13], v[14:15]
	v_add_f64 v[2:3], v[4:5], v[6:7]
	v_fma_f64 v[4:5], v[86:87], s[2:3], v[8:9]
	v_fma_f64 v[76:77], v[86:87], s[2:3], v[10:11]
	;; [unrolled: 1-line block ×8, first 2 shown]
	ds_write_b128 v126, v[0:3]
	ds_write_b128 v126, v[4:7] offset:112
	ds_write_b128 v126, v[8:11] offset:224
	ds_write_b128 v126, v[12:15] offset:336
	ds_write_b128 v126, v[76:79] offset:448
	s_waitcnt lgkmcnt(0)
	s_barrier
	buffer_gl0_inv
	s_and_saveexec_b32 s1, vcc_lo
	s_cbranch_execz .LBB0_23
; %bb.22:
	ds_read_b128 v[0:3], v121
	ds_read_b128 v[4:7], v121 offset:2240
	ds_read_b128 v[8:11], v121 offset:4480
	;; [unrolled: 1-line block ×6, first 2 shown]
.LBB0_23:
	s_or_b32 exec_lo, exec_lo, s1
	s_waitcnt lgkmcnt(5)
	v_mul_f64 v[80:81], v[22:23], v[6:7]
	v_mul_f64 v[22:23], v[22:23], v[4:5]
	s_waitcnt lgkmcnt(4)
	v_mul_f64 v[82:83], v[18:19], v[10:11]
	v_mul_f64 v[18:19], v[18:19], v[8:9]
	;; [unrolled: 3-line block ×3, first 2 shown]
	v_mul_f64 v[86:87], v[38:39], v[70:71]
	v_mul_f64 v[38:39], v[38:39], v[68:69]
	;; [unrolled: 1-line block ×6, first 2 shown]
	s_mov_b32 s8, 0xe976ee23
	s_mov_b32 s2, 0x36b3c0b5
	s_mov_b32 s9, 0x3fe11646
	s_mov_b32 s3, 0x3fac98ee
	s_mov_b32 s10, 0x37e14327
	s_mov_b32 s11, 0x3fe948f6
	s_mov_b32 s17, 0x3fe77f67
	s_mov_b32 s16, 0x5476071b
	s_barrier
	v_fma_f64 v[4:5], v[20:21], v[4:5], v[80:81]
	v_fma_f64 v[6:7], v[20:21], v[6:7], -v[22:23]
	v_fma_f64 v[8:9], v[16:17], v[8:9], v[82:83]
	v_fma_f64 v[10:11], v[16:17], v[10:11], -v[18:19]
	;; [unrolled: 2-line block ×6, first 2 shown]
	buffer_gl0_inv
	v_add_f64 v[28:29], v[16:17], v[4:5]
	v_add_f64 v[30:31], v[18:19], v[6:7]
	;; [unrolled: 1-line block ×4, first 2 shown]
	v_add_f64 v[8:9], v[8:9], -v[20:21]
	v_add_f64 v[10:11], v[10:11], -v[22:23]
	v_add_f64 v[20:21], v[12:13], v[24:25]
	v_add_f64 v[22:23], v[14:15], v[26:27]
	v_add_f64 v[12:13], v[24:25], -v[12:13]
	v_add_f64 v[14:15], v[26:27], -v[14:15]
	;; [unrolled: 1-line block ×4, first 2 shown]
	v_add_f64 v[16:17], v[32:33], v[28:29]
	v_add_f64 v[18:19], v[34:35], v[30:31]
	v_add_f64 v[24:25], v[20:21], -v[32:33]
	v_add_f64 v[26:27], v[22:23], -v[34:35]
	;; [unrolled: 1-line block ×6, first 2 shown]
	v_add_f64 v[8:9], v[12:13], v[8:9]
	v_add_f64 v[10:11], v[14:15], v[10:11]
	;; [unrolled: 1-line block ×4, first 2 shown]
	v_add_f64 v[20:21], v[28:29], -v[20:21]
	v_add_f64 v[22:23], v[30:31], -v[22:23]
	;; [unrolled: 1-line block ×4, first 2 shown]
	v_mul_f64 v[36:37], v[36:37], s[8:9]
	v_mul_f64 v[38:39], v[38:39], s[8:9]
	s_mov_b32 s8, 0x429ad128
	v_add_f64 v[32:33], v[4:5], -v[12:13]
	v_add_f64 v[34:35], v[6:7], -v[14:15]
	v_mul_f64 v[72:73], v[24:25], s[2:3]
	v_mul_f64 v[74:75], v[26:27], s[2:3]
	s_mov_b32 s9, 0xbfebfeb5
	v_add_f64 v[4:5], v[8:9], v[4:5]
	v_mul_f64 v[76:77], v[68:69], s[8:9]
	v_mul_f64 v[78:79], v[70:71], s[8:9]
	v_add_f64 v[6:7], v[10:11], v[6:7]
	v_add_f64 v[12:13], v[0:1], v[16:17]
	v_add_f64 v[14:15], v[2:3], v[18:19]
	v_mul_f64 v[0:1], v[20:21], s[10:11]
	v_mul_f64 v[2:3], v[22:23], s[10:11]
	s_mov_b32 s10, 0xaaaaaaaa
	s_mov_b32 s11, 0xbff2aaaa
	v_fma_f64 v[20:21], v[32:33], s[18:19], v[36:37]
	v_fma_f64 v[22:23], v[34:35], s[18:19], v[38:39]
	v_fma_f64 v[8:9], v[28:29], s[16:17], -v[72:73]
	v_fma_f64 v[10:11], v[30:31], s[16:17], -v[74:75]
	s_mov_b32 s17, 0xbfe77f67
	s_mov_b32 s19, 0x3fd5d0dc
	v_fma_f64 v[36:37], v[68:69], s[8:9], -v[36:37]
	v_fma_f64 v[38:39], v[70:71], s[8:9], -v[38:39]
	;; [unrolled: 1-line block ×4, first 2 shown]
	v_fma_f64 v[70:71], v[16:17], s[10:11], v[12:13]
	v_fma_f64 v[72:73], v[18:19], s[10:11], v[14:15]
	v_fma_f64 v[28:29], v[28:29], s[16:17], -v[0:1]
	v_fma_f64 v[74:75], v[30:31], s[16:17], -v[2:3]
	v_fma_f64 v[0:1], v[24:25], s[2:3], v[0:1]
	v_fma_f64 v[2:3], v[26:27], s[2:3], v[2:3]
	s_mov_b32 s2, 0x37c3f68c
	s_mov_b32 s3, 0xbfdc38aa
	v_fma_f64 v[20:21], v[4:5], s[2:3], v[20:21]
	v_fma_f64 v[16:17], v[6:7], s[2:3], v[22:23]
	;; [unrolled: 1-line block ×6, first 2 shown]
	v_add_f64 v[22:23], v[8:9], v[70:71]
	v_add_f64 v[38:39], v[10:11], v[72:73]
	;; [unrolled: 1-line block ×7, first 2 shown]
	v_add_f64 v[2:3], v[38:39], -v[34:35]
	v_add_f64 v[4:5], v[26:27], -v[24:25]
	v_add_f64 v[6:7], v[30:31], v[36:37]
	v_add_f64 v[8:9], v[28:29], -v[16:17]
	v_add_f64 v[10:11], v[20:21], v[32:33]
	s_and_saveexec_b32 s1, vcc_lo
	s_cbranch_execz .LBB0_25
; %bb.24:
	v_add_f64 v[34:35], v[34:35], v[38:39]
	v_add_f64 v[30:31], v[36:37], -v[30:31]
	v_add_f64 v[38:39], v[32:33], -v[20:21]
	v_add_f64 v[36:37], v[16:17], v[28:29]
	v_add_f64 v[28:29], v[24:25], v[26:27]
	v_add_f64 v[32:33], v[22:23], -v[18:19]
	v_mov_b32_e32 v16, 0xf5
	v_mul_u32_u24_sdwa v16, v123, v16 dst_sel:DWORD dst_unused:UNUSED_PAD src0_sel:WORD_0 src1_sel:DWORD
	v_add_lshl_u32 v16, v16, v124, 4
	ds_write_b128 v16, v[12:15]
	ds_write_b128 v16, v[0:3] offset:2240
	ds_write_b128 v16, v[4:7] offset:2800
	;; [unrolled: 1-line block ×6, first 2 shown]
.LBB0_25:
	s_or_b32 exec_lo, exec_lo, s1
	s_waitcnt lgkmcnt(0)
	s_barrier
	buffer_gl0_inv
	ds_read_b128 v[12:15], v121
	ds_read_b128 v[24:27], v121 offset:3920
	ds_read_b128 v[20:23], v121 offset:7840
	;; [unrolled: 1-line block ×3, first 2 shown]
	s_and_saveexec_b32 s1, s0
	s_cbranch_execz .LBB0_27
; %bb.26:
	ds_read_b128 v[0:3], v121 offset:3136
	ds_read_b128 v[4:7], v121 offset:7056
	;; [unrolled: 1-line block ×4, first 2 shown]
.LBB0_27:
	s_or_b32 exec_lo, exec_lo, s1
	s_waitcnt lgkmcnt(2)
	v_mul_f64 v[28:29], v[54:55], v[26:27]
	v_mul_f64 v[30:31], v[54:55], v[24:25]
	s_waitcnt lgkmcnt(1)
	v_mul_f64 v[32:33], v[58:59], v[22:23]
	v_mul_f64 v[34:35], v[58:59], v[20:21]
	;; [unrolled: 3-line block ×3, first 2 shown]
	v_fma_f64 v[24:25], v[52:53], v[24:25], v[28:29]
	v_fma_f64 v[26:27], v[52:53], v[26:27], -v[30:31]
	v_fma_f64 v[20:21], v[56:57], v[20:21], v[32:33]
	v_fma_f64 v[22:23], v[56:57], v[22:23], -v[34:35]
	;; [unrolled: 2-line block ×3, first 2 shown]
	v_add_f64 v[20:21], v[12:13], -v[20:21]
	v_add_f64 v[22:23], v[14:15], -v[22:23]
	;; [unrolled: 1-line block ×4, first 2 shown]
	v_fma_f64 v[28:29], v[12:13], 2.0, -v[20:21]
	v_fma_f64 v[30:31], v[14:15], 2.0, -v[22:23]
	;; [unrolled: 1-line block ×4, first 2 shown]
	v_add_f64 v[12:13], v[20:21], v[18:19]
	v_add_f64 v[14:15], v[22:23], -v[16:17]
	v_add_f64 v[16:17], v[28:29], -v[24:25]
	;; [unrolled: 1-line block ×3, first 2 shown]
	v_fma_f64 v[20:21], v[20:21], 2.0, -v[12:13]
	v_fma_f64 v[22:23], v[22:23], 2.0, -v[14:15]
	v_fma_f64 v[24:25], v[28:29], 2.0, -v[16:17]
	v_fma_f64 v[26:27], v[30:31], 2.0, -v[18:19]
	ds_write_b128 v121, v[20:23] offset:3920
	ds_write_b128 v121, v[16:19] offset:7840
	ds_write_b128 v121, v[24:27]
	ds_write_b128 v121, v[12:15] offset:11760
	s_and_saveexec_b32 s1, s0
	s_cbranch_execz .LBB0_29
; %bb.28:
	v_mul_f64 v[12:13], v[50:51], v[8:9]
	v_mul_f64 v[14:15], v[42:43], v[6:7]
	;; [unrolled: 1-line block ×6, first 2 shown]
	v_fma_f64 v[10:11], v[48:49], v[10:11], -v[12:13]
	v_fma_f64 v[4:5], v[40:41], v[4:5], v[14:15]
	v_fma_f64 v[6:7], v[40:41], v[6:7], -v[16:17]
	v_fma_f64 v[12:13], v[44:45], v[66:67], -v[18:19]
	v_fma_f64 v[8:9], v[48:49], v[8:9], v[20:21]
	v_fma_f64 v[14:15], v[44:45], v[64:65], v[22:23]
	v_add_f64 v[10:11], v[2:3], -v[10:11]
	v_add_f64 v[12:13], v[6:7], -v[12:13]
	;; [unrolled: 1-line block ×4, first 2 shown]
	v_fma_f64 v[16:17], v[2:3], 2.0, -v[10:11]
	v_fma_f64 v[6:7], v[6:7], 2.0, -v[12:13]
	;; [unrolled: 1-line block ×4, first 2 shown]
	v_add_f64 v[2:3], v[10:11], -v[14:15]
	v_add_f64 v[0:1], v[8:9], v[12:13]
	v_add_f64 v[6:7], v[16:17], -v[6:7]
	v_add_f64 v[4:5], v[18:19], -v[4:5]
	v_fma_f64 v[10:11], v[10:11], 2.0, -v[2:3]
	v_fma_f64 v[8:9], v[8:9], 2.0, -v[0:1]
	;; [unrolled: 1-line block ×4, first 2 shown]
	ds_write_b128 v121, v[8:11] offset:7056
	ds_write_b128 v121, v[4:7] offset:10976
	;; [unrolled: 1-line block ×4, first 2 shown]
.LBB0_29:
	s_or_b32 exec_lo, exec_lo, s1
	s_waitcnt lgkmcnt(0)
	s_barrier
	buffer_gl0_inv
	s_and_b32 exec_lo, exec_lo, vcc_lo
	s_cbranch_execz .LBB0_31
; %bb.30:
	v_add_co_u32 v18, s0, s14, v121
	v_add_co_ci_u32_e64 v19, null, s15, 0, s0
	v_mad_u64_u32 v[56:57], null, s6, v96, 0
	v_add_co_u32 v4, vcc_lo, 0x800, v18
	v_add_co_ci_u32_e32 v5, vcc_lo, 0, v19, vcc_lo
	v_add_co_u32 v8, vcc_lo, 0x1000, v18
	v_add_co_ci_u32_e32 v9, vcc_lo, 0, v19, vcc_lo
	;; [unrolled: 2-line block ×5, first 2 shown]
	v_add_co_u32 v24, vcc_lo, 0x3000, v18
	s_clause 0x3
	global_load_dwordx4 v[0:3], v121, s[14:15]
	global_load_dwordx4 v[4:7], v[4:5], off offset:192
	global_load_dwordx4 v[8:11], v[8:9], off offset:384
	;; [unrolled: 1-line block ×3, first 2 shown]
	v_add_co_ci_u32_e32 v25, vcc_lo, 0, v19, vcc_lo
	s_clause 0x2
	global_load_dwordx4 v[16:19], v[16:17], off offset:768
	global_load_dwordx4 v[20:23], v[20:21], off offset:960
	;; [unrolled: 1-line block ×3, first 2 shown]
	v_mad_u64_u32 v[58:59], null, s4, v122, 0
	v_mov_b32_e32 v44, v57
	ds_read_b128 v[28:31], v121
	ds_read_b128 v[32:35], v121 offset:2240
	ds_read_b128 v[36:39], v121 offset:4480
	;; [unrolled: 1-line block ×3, first 2 shown]
	s_mul_i32 s0, s5, 0x8c0
	s_mul_hi_u32 s1, s4, 0x8c0
	s_mul_i32 s2, s4, 0x8c0
	v_mov_b32_e32 v45, v59
	s_add_i32 s3, s1, s0
	s_mov_b32 s0, 0xec259dc8
	s_mov_b32 s1, 0x3f50b7e6
	v_mad_u64_u32 v[59:60], null, s7, v96, v[44:45]
	v_mad_u64_u32 v[60:61], null, s5, v122, v[45:46]
	ds_read_b128 v[44:47], v121 offset:8960
	ds_read_b128 v[48:51], v121 offset:11200
	;; [unrolled: 1-line block ×3, first 2 shown]
	v_mov_b32_e32 v57, v59
	v_mov_b32_e32 v59, v60
	v_lshlrev_b64 v[56:57], 4, v[56:57]
	v_lshlrev_b64 v[58:59], 4, v[58:59]
	v_add_co_u32 v56, vcc_lo, s12, v56
	v_add_co_ci_u32_e32 v57, vcc_lo, s13, v57, vcc_lo
	v_add_co_u32 v56, vcc_lo, v56, v58
	v_add_co_ci_u32_e32 v57, vcc_lo, v57, v59, vcc_lo
	s_waitcnt vmcnt(6) lgkmcnt(6)
	v_mul_f64 v[60:61], v[30:31], v[2:3]
	v_mul_f64 v[2:3], v[28:29], v[2:3]
	s_waitcnt vmcnt(5) lgkmcnt(5)
	v_mul_f64 v[62:63], v[34:35], v[6:7]
	v_mul_f64 v[6:7], v[32:33], v[6:7]
	;; [unrolled: 3-line block ×7, first 2 shown]
	v_fma_f64 v[28:29], v[28:29], v[0:1], v[60:61]
	v_fma_f64 v[2:3], v[0:1], v[30:31], -v[2:3]
	v_fma_f64 v[30:31], v[32:33], v[4:5], v[62:63]
	v_fma_f64 v[6:7], v[4:5], v[34:35], -v[6:7]
	;; [unrolled: 2-line block ×7, first 2 shown]
	v_add_co_u32 v42, vcc_lo, v56, s2
	v_add_co_ci_u32_e32 v43, vcc_lo, s3, v57, vcc_lo
	v_add_co_u32 v44, vcc_lo, v42, s2
	v_add_co_ci_u32_e32 v45, vcc_lo, s3, v43, vcc_lo
	v_mul_f64 v[0:1], v[28:29], s[0:1]
	v_mul_f64 v[2:3], v[2:3], s[0:1]
	;; [unrolled: 1-line block ×12, first 2 shown]
	v_add_co_u32 v28, vcc_lo, v44, s2
	v_mul_f64 v[24:25], v[40:41], s[0:1]
	v_mul_f64 v[26:27], v[26:27], s[0:1]
	v_add_co_ci_u32_e32 v29, vcc_lo, s3, v45, vcc_lo
	v_add_co_u32 v30, vcc_lo, v28, s2
	v_add_co_ci_u32_e32 v31, vcc_lo, s3, v29, vcc_lo
	v_add_co_u32 v32, vcc_lo, v30, s2
	;; [unrolled: 2-line block ×3, first 2 shown]
	v_add_co_ci_u32_e32 v35, vcc_lo, s3, v33, vcc_lo
	global_store_dwordx4 v[56:57], v[0:3], off
	global_store_dwordx4 v[42:43], v[4:7], off
	;; [unrolled: 1-line block ×7, first 2 shown]
.LBB0_31:
	s_endpgm
	.section	.rodata,"a",@progbits
	.p2align	6, 0x0
	.amdhsa_kernel bluestein_single_fwd_len980_dim1_dp_op_CI_CI
		.amdhsa_group_segment_fixed_size 15680
		.amdhsa_private_segment_fixed_size 0
		.amdhsa_kernarg_size 104
		.amdhsa_user_sgpr_count 6
		.amdhsa_user_sgpr_private_segment_buffer 1
		.amdhsa_user_sgpr_dispatch_ptr 0
		.amdhsa_user_sgpr_queue_ptr 0
		.amdhsa_user_sgpr_kernarg_segment_ptr 1
		.amdhsa_user_sgpr_dispatch_id 0
		.amdhsa_user_sgpr_flat_scratch_init 0
		.amdhsa_user_sgpr_private_segment_size 0
		.amdhsa_wavefront_size32 1
		.amdhsa_uses_dynamic_stack 0
		.amdhsa_system_sgpr_private_segment_wavefront_offset 0
		.amdhsa_system_sgpr_workgroup_id_x 1
		.amdhsa_system_sgpr_workgroup_id_y 0
		.amdhsa_system_sgpr_workgroup_id_z 0
		.amdhsa_system_sgpr_workgroup_info 0
		.amdhsa_system_vgpr_workitem_id 0
		.amdhsa_next_free_vgpr 175
		.amdhsa_next_free_sgpr 20
		.amdhsa_reserve_vcc 1
		.amdhsa_reserve_flat_scratch 0
		.amdhsa_float_round_mode_32 0
		.amdhsa_float_round_mode_16_64 0
		.amdhsa_float_denorm_mode_32 3
		.amdhsa_float_denorm_mode_16_64 3
		.amdhsa_dx10_clamp 1
		.amdhsa_ieee_mode 1
		.amdhsa_fp16_overflow 0
		.amdhsa_workgroup_processor_mode 1
		.amdhsa_memory_ordered 1
		.amdhsa_forward_progress 0
		.amdhsa_shared_vgpr_count 0
		.amdhsa_exception_fp_ieee_invalid_op 0
		.amdhsa_exception_fp_denorm_src 0
		.amdhsa_exception_fp_ieee_div_zero 0
		.amdhsa_exception_fp_ieee_overflow 0
		.amdhsa_exception_fp_ieee_underflow 0
		.amdhsa_exception_fp_ieee_inexact 0
		.amdhsa_exception_int_div_zero 0
	.end_amdhsa_kernel
	.text
.Lfunc_end0:
	.size	bluestein_single_fwd_len980_dim1_dp_op_CI_CI, .Lfunc_end0-bluestein_single_fwd_len980_dim1_dp_op_CI_CI
                                        ; -- End function
	.section	.AMDGPU.csdata,"",@progbits
; Kernel info:
; codeLenInByte = 10036
; NumSgprs: 22
; NumVgprs: 175
; ScratchSize: 0
; MemoryBound: 0
; FloatMode: 240
; IeeeMode: 1
; LDSByteSize: 15680 bytes/workgroup (compile time only)
; SGPRBlocks: 2
; VGPRBlocks: 21
; NumSGPRsForWavesPerEU: 22
; NumVGPRsForWavesPerEU: 175
; Occupancy: 5
; WaveLimiterHint : 1
; COMPUTE_PGM_RSRC2:SCRATCH_EN: 0
; COMPUTE_PGM_RSRC2:USER_SGPR: 6
; COMPUTE_PGM_RSRC2:TRAP_HANDLER: 0
; COMPUTE_PGM_RSRC2:TGID_X_EN: 1
; COMPUTE_PGM_RSRC2:TGID_Y_EN: 0
; COMPUTE_PGM_RSRC2:TGID_Z_EN: 0
; COMPUTE_PGM_RSRC2:TIDIG_COMP_CNT: 0
	.text
	.p2alignl 6, 3214868480
	.fill 48, 4, 3214868480
	.type	__hip_cuid_704f7efc1175f657,@object ; @__hip_cuid_704f7efc1175f657
	.section	.bss,"aw",@nobits
	.globl	__hip_cuid_704f7efc1175f657
__hip_cuid_704f7efc1175f657:
	.byte	0                               ; 0x0
	.size	__hip_cuid_704f7efc1175f657, 1

	.ident	"AMD clang version 19.0.0git (https://github.com/RadeonOpenCompute/llvm-project roc-6.4.0 25133 c7fe45cf4b819c5991fe208aaa96edf142730f1d)"
	.section	".note.GNU-stack","",@progbits
	.addrsig
	.addrsig_sym __hip_cuid_704f7efc1175f657
	.amdgpu_metadata
---
amdhsa.kernels:
  - .args:
      - .actual_access:  read_only
        .address_space:  global
        .offset:         0
        .size:           8
        .value_kind:     global_buffer
      - .actual_access:  read_only
        .address_space:  global
        .offset:         8
        .size:           8
        .value_kind:     global_buffer
      - .actual_access:  read_only
        .address_space:  global
        .offset:         16
        .size:           8
        .value_kind:     global_buffer
      - .actual_access:  read_only
        .address_space:  global
        .offset:         24
        .size:           8
        .value_kind:     global_buffer
      - .actual_access:  read_only
        .address_space:  global
        .offset:         32
        .size:           8
        .value_kind:     global_buffer
      - .offset:         40
        .size:           8
        .value_kind:     by_value
      - .address_space:  global
        .offset:         48
        .size:           8
        .value_kind:     global_buffer
      - .address_space:  global
        .offset:         56
        .size:           8
        .value_kind:     global_buffer
      - .address_space:  global
        .offset:         64
        .size:           8
        .value_kind:     global_buffer
      - .address_space:  global
        .offset:         72
        .size:           8
        .value_kind:     global_buffer
      - .offset:         80
        .size:           4
        .value_kind:     by_value
      - .address_space:  global
        .offset:         88
        .size:           8
        .value_kind:     global_buffer
      - .address_space:  global
        .offset:         96
        .size:           8
        .value_kind:     global_buffer
    .group_segment_fixed_size: 15680
    .kernarg_segment_align: 8
    .kernarg_segment_size: 104
    .language:       OpenCL C
    .language_version:
      - 2
      - 0
    .max_flat_workgroup_size: 196
    .name:           bluestein_single_fwd_len980_dim1_dp_op_CI_CI
    .private_segment_fixed_size: 0
    .sgpr_count:     22
    .sgpr_spill_count: 0
    .symbol:         bluestein_single_fwd_len980_dim1_dp_op_CI_CI.kd
    .uniform_work_group_size: 1
    .uses_dynamic_stack: false
    .vgpr_count:     175
    .vgpr_spill_count: 0
    .wavefront_size: 32
    .workgroup_processor_mode: 1
amdhsa.target:   amdgcn-amd-amdhsa--gfx1030
amdhsa.version:
  - 1
  - 2
...

	.end_amdgpu_metadata
